;; amdgpu-corpus repo=ROCm/rocFFT kind=compiled arch=gfx906 opt=O3
	.text
	.amdgcn_target "amdgcn-amd-amdhsa--gfx906"
	.amdhsa_code_object_version 6
	.protected	fft_rtc_fwd_len4096_factors_16_16_16_wgs_256_tpt_256_halfLds_sp_ip_CI_unitstride_sbrr_C2R_dirReg ; -- Begin function fft_rtc_fwd_len4096_factors_16_16_16_wgs_256_tpt_256_halfLds_sp_ip_CI_unitstride_sbrr_C2R_dirReg
	.globl	fft_rtc_fwd_len4096_factors_16_16_16_wgs_256_tpt_256_halfLds_sp_ip_CI_unitstride_sbrr_C2R_dirReg
	.p2align	8
	.type	fft_rtc_fwd_len4096_factors_16_16_16_wgs_256_tpt_256_halfLds_sp_ip_CI_unitstride_sbrr_C2R_dirReg,@function
fft_rtc_fwd_len4096_factors_16_16_16_wgs_256_tpt_256_halfLds_sp_ip_CI_unitstride_sbrr_C2R_dirReg: ; @fft_rtc_fwd_len4096_factors_16_16_16_wgs_256_tpt_256_halfLds_sp_ip_CI_unitstride_sbrr_C2R_dirReg
; %bb.0:
	s_load_dwordx4 s[8:11], s[4:5], 0x0
	s_load_dwordx2 s[2:3], s[4:5], 0x50
	s_load_dwordx2 s[12:13], s[4:5], 0x18
	v_mov_b32_e32 v3, 0
	v_mov_b32_e32 v1, 0
	s_waitcnt lgkmcnt(0)
	v_cmp_lt_u64_e64 s[0:1], s[10:11], 2
	v_mov_b32_e32 v5, s6
	v_mov_b32_e32 v6, v3
	s_and_b64 vcc, exec, s[0:1]
	v_mov_b32_e32 v2, 0
	s_cbranch_vccnz .LBB0_8
; %bb.1:
	s_load_dwordx2 s[0:1], s[4:5], 0x10
	s_add_u32 s6, s12, 8
	s_addc_u32 s7, s13, 0
	v_mov_b32_e32 v1, 0
	v_mov_b32_e32 v2, 0
	s_waitcnt lgkmcnt(0)
	s_add_u32 s14, s0, 8
	s_addc_u32 s15, s1, 0
	s_mov_b64 s[16:17], 1
.LBB0_2:                                ; =>This Inner Loop Header: Depth=1
	s_load_dwordx2 s[18:19], s[14:15], 0x0
                                        ; implicit-def: $vgpr7_vgpr8
	s_waitcnt lgkmcnt(0)
	v_or_b32_e32 v4, s19, v6
	v_cmp_ne_u64_e32 vcc, 0, v[3:4]
	s_and_saveexec_b64 s[0:1], vcc
	s_xor_b64 s[20:21], exec, s[0:1]
	s_cbranch_execz .LBB0_4
; %bb.3:                                ;   in Loop: Header=BB0_2 Depth=1
	v_cvt_f32_u32_e32 v4, s18
	v_cvt_f32_u32_e32 v7, s19
	s_sub_u32 s0, 0, s18
	s_subb_u32 s1, 0, s19
	v_mac_f32_e32 v4, 0x4f800000, v7
	v_rcp_f32_e32 v4, v4
	v_mul_f32_e32 v4, 0x5f7ffffc, v4
	v_mul_f32_e32 v7, 0x2f800000, v4
	v_trunc_f32_e32 v7, v7
	v_mac_f32_e32 v4, 0xcf800000, v7
	v_cvt_u32_f32_e32 v7, v7
	v_cvt_u32_f32_e32 v4, v4
	v_mul_lo_u32 v8, s0, v7
	v_mul_hi_u32 v9, s0, v4
	v_mul_lo_u32 v11, s1, v4
	v_mul_lo_u32 v10, s0, v4
	v_add_u32_e32 v8, v9, v8
	v_add_u32_e32 v8, v8, v11
	v_mul_hi_u32 v9, v4, v10
	v_mul_lo_u32 v11, v4, v8
	v_mul_hi_u32 v13, v4, v8
	v_mul_hi_u32 v12, v7, v10
	v_mul_lo_u32 v10, v7, v10
	v_mul_hi_u32 v14, v7, v8
	v_add_co_u32_e32 v9, vcc, v9, v11
	v_addc_co_u32_e32 v11, vcc, 0, v13, vcc
	v_mul_lo_u32 v8, v7, v8
	v_add_co_u32_e32 v9, vcc, v9, v10
	v_addc_co_u32_e32 v9, vcc, v11, v12, vcc
	v_addc_co_u32_e32 v10, vcc, 0, v14, vcc
	v_add_co_u32_e32 v8, vcc, v9, v8
	v_addc_co_u32_e32 v9, vcc, 0, v10, vcc
	v_add_co_u32_e32 v4, vcc, v4, v8
	v_addc_co_u32_e32 v7, vcc, v7, v9, vcc
	v_mul_lo_u32 v8, s0, v7
	v_mul_hi_u32 v9, s0, v4
	v_mul_lo_u32 v10, s1, v4
	v_mul_lo_u32 v11, s0, v4
	v_add_u32_e32 v8, v9, v8
	v_add_u32_e32 v8, v8, v10
	v_mul_lo_u32 v12, v4, v8
	v_mul_hi_u32 v13, v4, v11
	v_mul_hi_u32 v14, v4, v8
	;; [unrolled: 1-line block ×3, first 2 shown]
	v_mul_lo_u32 v11, v7, v11
	v_mul_hi_u32 v9, v7, v8
	v_add_co_u32_e32 v12, vcc, v13, v12
	v_addc_co_u32_e32 v13, vcc, 0, v14, vcc
	v_mul_lo_u32 v8, v7, v8
	v_add_co_u32_e32 v11, vcc, v12, v11
	v_addc_co_u32_e32 v10, vcc, v13, v10, vcc
	v_addc_co_u32_e32 v9, vcc, 0, v9, vcc
	v_add_co_u32_e32 v8, vcc, v10, v8
	v_addc_co_u32_e32 v9, vcc, 0, v9, vcc
	v_add_co_u32_e32 v4, vcc, v4, v8
	v_addc_co_u32_e32 v9, vcc, v7, v9, vcc
	v_mad_u64_u32 v[7:8], s[0:1], v5, v9, 0
	v_mul_hi_u32 v10, v5, v4
	v_add_co_u32_e32 v11, vcc, v10, v7
	v_addc_co_u32_e32 v12, vcc, 0, v8, vcc
	v_mad_u64_u32 v[7:8], s[0:1], v6, v4, 0
	v_mad_u64_u32 v[9:10], s[0:1], v6, v9, 0
	v_add_co_u32_e32 v4, vcc, v11, v7
	v_addc_co_u32_e32 v4, vcc, v12, v8, vcc
	v_addc_co_u32_e32 v7, vcc, 0, v10, vcc
	v_add_co_u32_e32 v4, vcc, v4, v9
	v_addc_co_u32_e32 v9, vcc, 0, v7, vcc
	v_mul_lo_u32 v10, s19, v4
	v_mul_lo_u32 v11, s18, v9
	v_mad_u64_u32 v[7:8], s[0:1], s18, v4, 0
	v_add3_u32 v8, v8, v11, v10
	v_sub_u32_e32 v10, v6, v8
	v_mov_b32_e32 v11, s19
	v_sub_co_u32_e32 v7, vcc, v5, v7
	v_subb_co_u32_e64 v10, s[0:1], v10, v11, vcc
	v_subrev_co_u32_e64 v11, s[0:1], s18, v7
	v_subbrev_co_u32_e64 v10, s[0:1], 0, v10, s[0:1]
	v_cmp_le_u32_e64 s[0:1], s19, v10
	v_cndmask_b32_e64 v12, 0, -1, s[0:1]
	v_cmp_le_u32_e64 s[0:1], s18, v11
	v_cndmask_b32_e64 v11, 0, -1, s[0:1]
	v_cmp_eq_u32_e64 s[0:1], s19, v10
	v_cndmask_b32_e64 v10, v12, v11, s[0:1]
	v_add_co_u32_e64 v11, s[0:1], 2, v4
	v_addc_co_u32_e64 v12, s[0:1], 0, v9, s[0:1]
	v_add_co_u32_e64 v13, s[0:1], 1, v4
	v_addc_co_u32_e64 v14, s[0:1], 0, v9, s[0:1]
	v_subb_co_u32_e32 v8, vcc, v6, v8, vcc
	v_cmp_ne_u32_e64 s[0:1], 0, v10
	v_cmp_le_u32_e32 vcc, s19, v8
	v_cndmask_b32_e64 v10, v14, v12, s[0:1]
	v_cndmask_b32_e64 v12, 0, -1, vcc
	v_cmp_le_u32_e32 vcc, s18, v7
	v_cndmask_b32_e64 v7, 0, -1, vcc
	v_cmp_eq_u32_e32 vcc, s19, v8
	v_cndmask_b32_e32 v7, v12, v7, vcc
	v_cmp_ne_u32_e32 vcc, 0, v7
	v_cndmask_b32_e64 v7, v13, v11, s[0:1]
	v_cndmask_b32_e32 v8, v9, v10, vcc
	v_cndmask_b32_e32 v7, v4, v7, vcc
.LBB0_4:                                ;   in Loop: Header=BB0_2 Depth=1
	s_andn2_saveexec_b64 s[0:1], s[20:21]
	s_cbranch_execz .LBB0_6
; %bb.5:                                ;   in Loop: Header=BB0_2 Depth=1
	v_cvt_f32_u32_e32 v4, s18
	s_sub_i32 s20, 0, s18
	v_rcp_iflag_f32_e32 v4, v4
	v_mul_f32_e32 v4, 0x4f7ffffe, v4
	v_cvt_u32_f32_e32 v4, v4
	v_mul_lo_u32 v7, s20, v4
	v_mul_hi_u32 v7, v4, v7
	v_add_u32_e32 v4, v4, v7
	v_mul_hi_u32 v4, v5, v4
	v_mul_lo_u32 v7, v4, s18
	v_add_u32_e32 v8, 1, v4
	v_sub_u32_e32 v7, v5, v7
	v_subrev_u32_e32 v9, s18, v7
	v_cmp_le_u32_e32 vcc, s18, v7
	v_cndmask_b32_e32 v7, v7, v9, vcc
	v_cndmask_b32_e32 v4, v4, v8, vcc
	v_add_u32_e32 v8, 1, v4
	v_cmp_le_u32_e32 vcc, s18, v7
	v_cndmask_b32_e32 v7, v4, v8, vcc
	v_mov_b32_e32 v8, v3
.LBB0_6:                                ;   in Loop: Header=BB0_2 Depth=1
	s_or_b64 exec, exec, s[0:1]
	v_mul_lo_u32 v4, v8, s18
	v_mul_lo_u32 v11, v7, s19
	v_mad_u64_u32 v[9:10], s[0:1], v7, s18, 0
	s_load_dwordx2 s[0:1], s[6:7], 0x0
	s_add_u32 s16, s16, 1
	v_add3_u32 v4, v10, v11, v4
	v_sub_co_u32_e32 v5, vcc, v5, v9
	v_subb_co_u32_e32 v4, vcc, v6, v4, vcc
	s_waitcnt lgkmcnt(0)
	v_mul_lo_u32 v4, s0, v4
	v_mul_lo_u32 v6, s1, v5
	v_mad_u64_u32 v[1:2], s[0:1], s0, v5, v[1:2]
	s_addc_u32 s17, s17, 0
	s_add_u32 s6, s6, 8
	v_add3_u32 v2, v6, v2, v4
	v_mov_b32_e32 v4, s10
	v_mov_b32_e32 v5, s11
	s_addc_u32 s7, s7, 0
	v_cmp_ge_u64_e32 vcc, s[16:17], v[4:5]
	s_add_u32 s14, s14, 8
	s_addc_u32 s15, s15, 0
	s_cbranch_vccnz .LBB0_9
; %bb.7:                                ;   in Loop: Header=BB0_2 Depth=1
	v_mov_b32_e32 v5, v7
	v_mov_b32_e32 v6, v8
	s_branch .LBB0_2
.LBB0_8:
	v_mov_b32_e32 v8, v6
	v_mov_b32_e32 v7, v5
.LBB0_9:
	s_lshl_b64 s[0:1], s[10:11], 3
	s_add_u32 s0, s12, s0
	s_addc_u32 s1, s13, s1
	s_load_dwordx2 s[6:7], s[0:1], 0x0
	s_load_dwordx2 s[10:11], s[4:5], 0x20
	v_lshlrev_b32_e32 v9, 3, v0
	s_waitcnt lgkmcnt(0)
	v_mul_lo_u32 v3, s6, v8
	v_mul_lo_u32 v4, s7, v7
	v_mad_u64_u32 v[1:2], s[0:1], s6, v7, v[1:2]
	v_cmp_gt_u64_e32 vcc, s[10:11], v[7:8]
	v_add3_u32 v2, v4, v2, v3
	v_lshlrev_b64 v[1:2], 3, v[1:2]
	v_mov_b32_e32 v3, v0
	s_and_saveexec_b64 s[4:5], vcc
	s_cbranch_execz .LBB0_13
; %bb.10:
	v_mov_b32_e32 v3, s3
	v_add_co_u32_e64 v42, s[0:1], s2, v1
	v_addc_co_u32_e64 v43, s[0:1], v3, v2, s[0:1]
	v_add_co_u32_e64 v3, s[0:1], v42, v9
	v_addc_co_u32_e64 v4, s[0:1], 0, v43, s[0:1]
	v_or_b32_e32 v5, 0x1000, v9
	v_add_co_u32_e64 v5, s[0:1], v42, v5
	v_addc_co_u32_e64 v6, s[0:1], 0, v43, s[0:1]
	global_load_dwordx2 v[7:8], v[3:4], off
	global_load_dwordx2 v[10:11], v[3:4], off offset:2048
	global_load_dwordx2 v[12:13], v[5:6], off
	v_or_b32_e32 v3, 0x2000, v9
	v_add_co_u32_e64 v3, s[0:1], v42, v3
	v_addc_co_u32_e64 v4, s[0:1], 0, v43, s[0:1]
	v_or_b32_e32 v5, 0x2800, v9
	v_add_co_u32_e64 v5, s[0:1], v42, v5
	v_or_b32_e32 v14, 0x3000, v9
	v_addc_co_u32_e64 v6, s[0:1], 0, v43, s[0:1]
	v_add_co_u32_e64 v14, s[0:1], v42, v14
	v_addc_co_u32_e64 v15, s[0:1], 0, v43, s[0:1]
	v_or_b32_e32 v45, 0x1800, v9
	global_load_dwordx2 v[16:17], v[5:6], off
	global_load_dwordx2 v[18:19], v[14:15], off
	v_add_co_u32_e64 v5, s[0:1], v42, v45
	v_addc_co_u32_e64 v6, s[0:1], 0, v43, s[0:1]
	v_or_b32_e32 v46, 0x3800, v9
	global_load_dwordx2 v[14:15], v[3:4], off
	global_load_dwordx2 v[20:21], v[5:6], off
	v_add_co_u32_e64 v3, s[0:1], v42, v46
	v_or_b32_e32 v5, 0x4000, v9
	v_addc_co_u32_e64 v4, s[0:1], 0, v43, s[0:1]
	v_add_co_u32_e64 v5, s[0:1], v42, v5
	v_or_b32_e32 v22, 0x4800, v9
	v_addc_co_u32_e64 v6, s[0:1], 0, v43, s[0:1]
	v_add_co_u32_e64 v22, s[0:1], v42, v22
	v_addc_co_u32_e64 v23, s[0:1], 0, v43, s[0:1]
	v_or_b32_e32 v24, 0x5000, v9
	v_add_co_u32_e64 v24, s[0:1], v42, v24
	v_addc_co_u32_e64 v25, s[0:1], 0, v43, s[0:1]
	v_or_b32_e32 v47, 0x5800, v9
	global_load_dwordx2 v[26:27], v[3:4], off
	global_load_dwordx2 v[28:29], v[5:6], off
	;; [unrolled: 1-line block ×4, first 2 shown]
	v_add_co_u32_e64 v3, s[0:1], v42, v47
	v_addc_co_u32_e64 v4, s[0:1], 0, v43, s[0:1]
	v_or_b32_e32 v5, 0x6000, v9
	v_add_co_u32_e64 v5, s[0:1], v42, v5
	v_addc_co_u32_e64 v6, s[0:1], 0, v43, s[0:1]
	v_or_b32_e32 v22, 0x6800, v9
	;; [unrolled: 3-line block ×3, first 2 shown]
	v_add_co_u32_e64 v24, s[0:1], v42, v24
	v_or_b32_e32 v44, 0x7800, v9
	v_addc_co_u32_e64 v25, s[0:1], 0, v43, s[0:1]
	global_load_dwordx2 v[34:35], v[3:4], off
	global_load_dwordx2 v[36:37], v[5:6], off
	global_load_dwordx2 v[38:39], v[22:23], off
	global_load_dwordx2 v[40:41], v[24:25], off
	v_add_co_u32_e64 v4, s[0:1], v42, v44
	v_addc_co_u32_e64 v5, s[0:1], 0, v43, s[0:1]
	global_load_dwordx2 v[22:23], v[4:5], off
	v_add_u32_e32 v3, 0, v9
	v_add_u32_e32 v6, 0, v45
	s_movk_i32 s0, 0xff
	v_cmp_eq_u32_e64 s[0:1], s0, v0
	s_waitcnt vmcnt(14)
	ds_write2st64_b64 v3, v[7:8], v[10:11] offset1:4
	s_waitcnt vmcnt(10)
	ds_write2st64_b64 v3, v[12:13], v[14:15] offset0:8 offset1:16
	ds_write2st64_b64 v3, v[16:17], v[18:19] offset0:20 offset1:24
	s_waitcnt vmcnt(9)
	ds_write_b64 v6, v[20:21]
	v_add_u32_e32 v6, 0, v46
	s_waitcnt vmcnt(8)
	ds_write_b64 v6, v[26:27]
	s_waitcnt vmcnt(6)
	ds_write2st64_b64 v3, v[28:29], v[30:31] offset0:32 offset1:36
	v_add_u32_e32 v6, 0, v47
	s_waitcnt vmcnt(4)
	ds_write_b64 v6, v[34:35]
	s_waitcnt vmcnt(3)
	ds_write2st64_b64 v3, v[32:33], v[36:37] offset0:40 offset1:48
	s_waitcnt vmcnt(1)
	ds_write2st64_b64 v3, v[38:39], v[40:41] offset0:52 offset1:56
	v_add_u32_e32 v6, 0, v44
	v_mov_b32_e32 v3, v0
	s_waitcnt vmcnt(0)
	ds_write_b64 v6, v[22:23]
	s_and_saveexec_b64 s[6:7], s[0:1]
	s_cbranch_execz .LBB0_12
; %bb.11:
	global_load_dwordx2 v[3:4], v[4:5], off offset:8
	s_waitcnt vmcnt(0)
	ds_write_b64 v6, v[3:4] offset:8
	v_mov_b32_e32 v3, 0xff
.LBB0_12:
	s_or_b64 exec, exec, s[6:7]
.LBB0_13:
	s_or_b64 exec, exec, s[4:5]
	v_lshlrev_b32_e32 v12, 3, v3
	v_add_u32_e32 v10, 0, v12
	s_waitcnt lgkmcnt(0)
	s_barrier
	v_sub_u32_e32 v11, 0, v12
	ds_read_b32 v4, v10
	ds_read_b32 v6, v11 offset:32768
	s_add_u32 s4, s8, 0x7f80
	s_addc_u32 s5, s9, 0
	v_cmp_ne_u32_e64 s[0:1], 0, v3
                                        ; implicit-def: $vgpr7_vgpr8
	s_waitcnt lgkmcnt(0)
	v_add_f32_e32 v5, v6, v4
	v_sub_f32_e32 v6, v4, v6
	s_and_saveexec_b64 s[6:7], s[0:1]
	s_xor_b64 s[0:1], exec, s[6:7]
	s_cbranch_execz .LBB0_15
; %bb.14:
	global_load_dwordx2 v[7:8], v12, s[4:5]
	ds_read_b32 v13, v11 offset:32772
	ds_read_b32 v14, v10 offset:4
	v_mov_b32_e32 v4, 0
	s_waitcnt lgkmcnt(0)
	v_add_f32_e32 v17, v13, v14
	v_sub_f32_e32 v13, v14, v13
	s_waitcnt vmcnt(0)
	v_fma_f32 v18, v6, v8, v5
	v_fma_f32 v14, v17, v8, v13
	v_fma_f32 v15, -v6, v8, v5
	v_fma_f32 v16, v17, v8, -v13
	v_fma_f32 v13, -v7, v17, v18
	v_fmac_f32_e32 v14, v6, v7
	v_fmac_f32_e32 v15, v7, v17
	;; [unrolled: 1-line block ×3, first 2 shown]
	v_mov_b32_e32 v8, v4
	ds_write_b64 v10, v[13:14]
	ds_write_b64 v11, v[15:16] offset:32768
	v_mov_b32_e32 v7, v3
                                        ; implicit-def: $vgpr5
.LBB0_15:
	s_andn2_saveexec_b64 s[0:1], s[0:1]
	s_cbranch_execz .LBB0_17
; %bb.16:
	ds_write_b64 v10, v[5:6]
	v_mov_b32_e32 v6, 0
	ds_read_b64 v[4:5], v6 offset:16384
	v_mov_b32_e32 v7, 0
	v_mov_b32_e32 v8, 0
	s_waitcnt lgkmcnt(0)
	v_add_f32_e32 v4, v4, v4
	v_mul_f32_e32 v5, -2.0, v5
	ds_write_b64 v6, v[4:5] offset:16384
.LBB0_17:
	s_or_b64 exec, exec, s[0:1]
	v_lshlrev_b64 v[4:5], 3, v[7:8]
	v_mov_b32_e32 v6, s5
	v_add_co_u32_e64 v4, s[0:1], s4, v4
	v_addc_co_u32_e64 v5, s[0:1], v6, v5, s[0:1]
	global_load_dwordx2 v[4:5], v[4:5], off offset:2048
	v_or_b32_e32 v6, 0x1000, v12
	global_load_dwordx2 v[6:7], v6, s[4:5]
	v_or_b32_e32 v8, 0x1800, v9
	global_load_dwordx2 v[13:14], v8, s[4:5]
	;; [unrolled: 2-line block ×3, first 2 shown]
	ds_read_b64 v[17:18], v10 offset:2048
	ds_read_b64 v[19:20], v11 offset:30720
	v_or_b32_e32 v21, 0x2800, v12
	global_load_dwordx2 v[21:22], v21, s[4:5]
	s_movk_i32 s0, 0x78
	s_waitcnt lgkmcnt(0)
	v_add_f32_e32 v23, v17, v19
	v_add_f32_e32 v24, v20, v18
	v_sub_f32_e32 v25, v17, v19
	v_sub_f32_e32 v19, v18, v20
	s_waitcnt vmcnt(4)
	v_fma_f32 v26, v25, v5, v23
	v_fma_f32 v20, v24, v5, v19
	v_fma_f32 v17, -v25, v5, v23
	v_fma_f32 v18, v24, v5, -v19
	v_fma_f32 v19, -v4, v24, v26
	v_fmac_f32_e32 v20, v25, v4
	v_fmac_f32_e32 v17, v4, v24
	;; [unrolled: 1-line block ×3, first 2 shown]
	ds_write_b64 v10, v[19:20] offset:2048
	ds_write_b64 v11, v[17:18] offset:30720
	ds_read_b64 v[17:18], v10 offset:4096
	ds_read_b64 v[19:20], v11 offset:28672
	v_or_b32_e32 v5, 0x3000, v12
	v_add_u32_e32 v4, 0, v8
	s_waitcnt lgkmcnt(0)
	v_add_f32_e32 v8, v17, v19
	v_add_f32_e32 v12, v20, v18
	v_sub_f32_e32 v23, v17, v19
	v_sub_f32_e32 v24, v18, v20
	global_load_dwordx2 v[17:18], v5, s[4:5]
	s_waitcnt vmcnt(4)
	v_fma_f32 v25, v23, v7, v8
	v_fma_f32 v19, -v23, v7, v8
	v_fma_f32 v8, v12, v7, v24
	v_fma_f32 v20, v12, v7, -v24
	v_fma_f32 v7, -v6, v12, v25
	v_fmac_f32_e32 v8, v23, v6
	v_fmac_f32_e32 v19, v6, v12
	;; [unrolled: 1-line block ×3, first 2 shown]
	ds_write_b64 v10, v[7:8] offset:4096
	ds_write_b64 v11, v[19:20] offset:28672
	v_or_b32_e32 v23, 0x3800, v9
	ds_read_b64 v[5:6], v4
	ds_read_b64 v[7:8], v11 offset:26624
	global_load_dwordx2 v[19:20], v23, s[4:5]
	s_waitcnt lgkmcnt(0)
	v_add_f32_e32 v12, v5, v7
	v_add_f32_e32 v24, v8, v6
	v_sub_f32_e32 v25, v5, v7
	v_sub_f32_e32 v7, v6, v8
	s_waitcnt vmcnt(4)
	v_fma_f32 v26, v25, v14, v12
	v_fma_f32 v8, v24, v14, v7
	v_fma_f32 v5, -v25, v14, v12
	v_fma_f32 v6, v24, v14, -v7
	v_fma_f32 v7, -v13, v24, v26
	v_fmac_f32_e32 v8, v25, v13
	v_fmac_f32_e32 v5, v13, v24
	;; [unrolled: 1-line block ×3, first 2 shown]
	ds_write_b64 v4, v[7:8]
	ds_write_b64 v11, v[5:6] offset:26624
	ds_read_b64 v[5:6], v10 offset:8192
	ds_read_b64 v[7:8], v11 offset:24576
	s_waitcnt lgkmcnt(0)
	v_add_f32_e32 v12, v5, v7
	v_add_f32_e32 v13, v8, v6
	v_sub_f32_e32 v14, v5, v7
	v_sub_f32_e32 v7, v6, v8
	s_waitcnt vmcnt(3)
	v_fma_f32 v24, v14, v16, v12
	v_fma_f32 v8, v13, v16, v7
	v_fma_f32 v5, -v14, v16, v12
	v_fma_f32 v6, v13, v16, -v7
	v_fma_f32 v7, -v15, v13, v24
	v_fmac_f32_e32 v8, v14, v15
	v_fmac_f32_e32 v5, v15, v13
	;; [unrolled: 1-line block ×3, first 2 shown]
	ds_write_b64 v10, v[7:8] offset:8192
	ds_write_b64 v11, v[5:6] offset:24576
	ds_read_b64 v[5:6], v10 offset:10240
	ds_read_b64 v[7:8], v11 offset:22528
	s_waitcnt lgkmcnt(0)
	v_add_f32_e32 v12, v5, v7
	v_add_f32_e32 v13, v8, v6
	v_sub_f32_e32 v14, v5, v7
	v_sub_f32_e32 v7, v6, v8
	s_waitcnt vmcnt(2)
	v_fma_f32 v15, v14, v22, v12
	v_fma_f32 v8, v13, v22, v7
	v_fma_f32 v5, -v14, v22, v12
	v_fma_f32 v6, v13, v22, -v7
	v_fma_f32 v7, -v21, v13, v15
	v_fmac_f32_e32 v8, v14, v21
	v_fmac_f32_e32 v5, v21, v13
	;; [unrolled: 1-line block ×3, first 2 shown]
	ds_write_b64 v10, v[7:8] offset:10240
	ds_write_b64 v11, v[5:6] offset:22528
	ds_read_b64 v[6:7], v10 offset:12288
	ds_read_b64 v[12:13], v11 offset:20480
	v_add_u32_e32 v5, 0, v23
	s_waitcnt lgkmcnt(0)
	v_add_f32_e32 v8, v6, v12
	v_add_f32_e32 v14, v13, v7
	v_sub_f32_e32 v15, v6, v12
	v_sub_f32_e32 v6, v7, v13
	s_waitcnt vmcnt(1)
	v_fma_f32 v16, v15, v18, v8
	v_fma_f32 v7, v14, v18, v6
	v_fma_f32 v12, -v15, v18, v8
	v_fma_f32 v13, v14, v18, -v6
	v_fma_f32 v6, -v17, v14, v16
	v_fmac_f32_e32 v7, v15, v17
	v_fmac_f32_e32 v12, v17, v14
	;; [unrolled: 1-line block ×3, first 2 shown]
	ds_write_b64 v10, v[6:7] offset:12288
	ds_write_b64 v11, v[12:13] offset:20480
	ds_read_b64 v[6:7], v5
	ds_read_b64 v[12:13], v11 offset:18432
	s_waitcnt lgkmcnt(0)
	v_add_f32_e32 v8, v6, v12
	v_add_f32_e32 v14, v13, v7
	v_sub_f32_e32 v15, v6, v12
	v_sub_f32_e32 v6, v7, v13
	s_waitcnt vmcnt(0)
	v_fma_f32 v16, v15, v20, v8
	v_fma_f32 v7, v14, v20, v6
	v_fma_f32 v12, -v15, v20, v8
	v_fma_f32 v13, v14, v20, -v6
	v_fma_f32 v6, -v19, v14, v16
	v_fmac_f32_e32 v7, v15, v19
	v_fmac_f32_e32 v12, v19, v14
	;; [unrolled: 1-line block ×3, first 2 shown]
	ds_write_b64 v5, v[6:7]
	ds_write_b64 v11, v[12:13] offset:18432
	s_waitcnt lgkmcnt(0)
	s_barrier
	s_barrier
	ds_read2st64_b64 v[11:14], v10 offset1:4
	ds_read2st64_b64 v[15:18], v10 offset0:32 offset1:36
	ds_read2st64_b64 v[19:22], v10 offset0:16 offset1:20
	;; [unrolled: 1-line block ×3, first 2 shown]
	s_waitcnt lgkmcnt(2)
	v_sub_f32_e32 v6, v11, v15
	v_sub_f32_e32 v7, v12, v16
	;; [unrolled: 1-line block ×4, first 2 shown]
	v_fma_f32 v27, v11, 2.0, -v6
	v_fma_f32 v28, v12, 2.0, -v7
	;; [unrolled: 1-line block ×4, first 2 shown]
	ds_read2st64_b64 v[11:14], v10 offset0:8 offset1:12
	ds_read2st64_b64 v[15:18], v10 offset0:40 offset1:44
	s_waitcnt lgkmcnt(2)
	v_sub_f32_e32 v23, v19, v23
	v_sub_f32_e32 v24, v20, v24
	;; [unrolled: 1-line block ×4, first 2 shown]
	v_fma_f32 v32, v19, 2.0, -v23
	v_fma_f32 v33, v20, 2.0, -v24
	;; [unrolled: 1-line block ×4, first 2 shown]
	s_waitcnt lgkmcnt(0)
	v_sub_f32_e32 v36, v11, v15
	v_sub_f32_e32 v37, v12, v16
	;; [unrolled: 1-line block ×4, first 2 shown]
	ds_read2st64_b64 v[15:18], v10 offset0:24 offset1:28
	ds_read2st64_b64 v[19:22], v10 offset0:56 offset1:60
	v_sub_f32_e32 v24, v6, v24
	v_add_f32_e32 v23, v7, v23
	v_fma_f32 v40, v6, 2.0, -v24
	v_fma_f32 v41, v7, 2.0, -v23
	s_waitcnt lgkmcnt(0)
	v_sub_f32_e32 v19, v15, v19
	v_sub_f32_e32 v20, v16, v20
	v_fma_f32 v15, v15, 2.0, -v19
	v_fma_f32 v16, v16, 2.0, -v20
	v_sub_f32_e32 v20, v36, v20
	v_add_f32_e32 v19, v37, v19
	v_fma_f32 v11, v11, 2.0, -v36
	v_fma_f32 v12, v12, 2.0, -v37
	v_sub_f32_e32 v21, v17, v21
	v_sub_f32_e32 v22, v18, v22
	v_fma_f32 v6, v36, 2.0, -v20
	v_fma_f32 v7, v37, 2.0, -v19
	v_mov_b32_e32 v36, v40
	v_mov_b32_e32 v37, v41
	v_sub_f32_e32 v26, v8, v26
	v_add_f32_e32 v25, v29, v25
	v_fma_f32 v17, v17, 2.0, -v21
	v_fma_f32 v18, v18, 2.0, -v22
	v_fmac_f32_e32 v36, 0xbf3504f3, v6
	v_fmac_f32_e32 v37, 0xbf3504f3, v7
	v_fma_f32 v8, v8, 2.0, -v26
	v_fma_f32 v29, v29, 2.0, -v25
	v_sub_f32_e32 v22, v38, v22
	v_add_f32_e32 v21, v39, v21
	v_fma_f32 v13, v13, 2.0, -v38
	v_fma_f32 v14, v14, 2.0, -v39
	v_fmac_f32_e32 v36, 0xbf3504f3, v7
	v_fmac_f32_e32 v37, 0x3f3504f3, v6
	v_fma_f32 v6, v38, 2.0, -v22
	v_fma_f32 v7, v39, 2.0, -v21
	v_mov_b32_e32 v38, v8
	v_mov_b32_e32 v39, v29
	v_fmac_f32_e32 v38, 0xbf3504f3, v6
	v_fmac_f32_e32 v39, 0xbf3504f3, v7
	v_sub_f32_e32 v32, v27, v32
	v_sub_f32_e32 v33, v28, v33
	v_fmac_f32_e32 v38, 0xbf3504f3, v7
	v_fmac_f32_e32 v39, 0x3f3504f3, v6
	v_fma_f32 v6, v27, 2.0, -v32
	v_fma_f32 v7, v28, 2.0, -v33
	v_sub_f32_e32 v27, v11, v15
	v_sub_f32_e32 v28, v12, v16
	;; [unrolled: 1-line block ×6, first 2 shown]
	v_fma_f32 v11, v11, 2.0, -v27
	v_fma_f32 v12, v12, 2.0, -v28
	;; [unrolled: 1-line block ×6, first 2 shown]
	v_sub_f32_e32 v30, v6, v11
	v_sub_f32_e32 v31, v7, v12
	;; [unrolled: 1-line block ×4, first 2 shown]
	v_fma_f32 v11, v6, 2.0, -v30
	v_fma_f32 v12, v7, 2.0, -v31
	;; [unrolled: 1-line block ×8, first 2 shown]
	v_mov_b32_e32 v13, v15
	v_mov_b32_e32 v14, v16
	v_fmac_f32_e32 v13, 0xbf6c835e, v8
	v_fmac_f32_e32 v14, 0xbf6c835e, v29
	v_sub_f32_e32 v6, v11, v6
	v_sub_f32_e32 v7, v12, v7
	v_fmac_f32_e32 v13, 0xbec3ef15, v29
	v_fmac_f32_e32 v14, 0x3ec3ef15, v8
	v_fma_f32 v11, v11, 2.0, -v6
	v_fma_f32 v12, v12, 2.0, -v7
	;; [unrolled: 1-line block ×4, first 2 shown]
	v_mad_u32_u24 v8, v3, s0, v10
	v_mov_b32_e32 v29, v24
	v_mov_b32_e32 v40, v23
	v_sub_f32_e32 v28, v32, v28
	v_add_f32_e32 v27, v33, v27
	s_barrier
	ds_write2_b64 v8, v[11:12], v[15:16] offset1:1
	v_fmac_f32_e32 v29, 0x3f3504f3, v20
	v_fmac_f32_e32 v40, 0x3f3504f3, v19
	v_mov_b32_e32 v41, v26
	v_mov_b32_e32 v44, v25
	v_fma_f32 v15, v32, 2.0, -v28
	v_fma_f32 v16, v33, 2.0, -v27
	v_sub_f32_e32 v32, v34, v18
	v_add_f32_e32 v33, v35, v17
	v_fmac_f32_e32 v29, 0xbf3504f3, v19
	v_fmac_f32_e32 v40, 0x3f3504f3, v20
	;; [unrolled: 1-line block ×4, first 2 shown]
	v_fma_f32 v17, v34, 2.0, -v32
	v_fma_f32 v18, v35, 2.0, -v33
	v_mov_b32_e32 v11, v15
	v_mov_b32_e32 v12, v16
	v_fmac_f32_e32 v41, 0xbf3504f3, v21
	v_fmac_f32_e32 v44, 0x3f3504f3, v22
	;; [unrolled: 1-line block ×4, first 2 shown]
	v_fma_f32 v19, v24, 2.0, -v29
	v_fma_f32 v20, v23, 2.0, -v40
	v_fmac_f32_e32 v11, 0xbf3504f3, v18
	v_fmac_f32_e32 v12, 0x3f3504f3, v17
	v_fma_f32 v21, v26, 2.0, -v41
	v_fma_f32 v22, v25, 2.0, -v44
	v_mov_b32_e32 v17, v19
	v_mov_b32_e32 v18, v20
	v_fmac_f32_e32 v17, 0xbec3ef15, v21
	v_fmac_f32_e32 v18, 0xbec3ef15, v22
	;; [unrolled: 1-line block ×4, first 2 shown]
	v_mov_b32_e32 v21, v36
	v_mov_b32_e32 v22, v37
	v_fma_f32 v15, v15, 2.0, -v11
	v_fma_f32 v16, v16, 2.0, -v12
	;; [unrolled: 1-line block ×4, first 2 shown]
	v_fmac_f32_e32 v21, 0x3ec3ef15, v38
	v_fmac_f32_e32 v22, 0x3ec3ef15, v39
	ds_write2_b64 v8, v[15:16], v[19:20] offset0:2 offset1:3
	v_sub_f32_e32 v15, v30, v43
	v_add_f32_e32 v16, v31, v42
	v_fmac_f32_e32 v21, 0xbf6c835e, v39
	v_fmac_f32_e32 v22, 0x3f6c835e, v38
	v_fma_f32 v19, v30, 2.0, -v15
	v_fma_f32 v20, v31, 2.0, -v16
	;; [unrolled: 1-line block ×4, first 2 shown]
	ds_write2_b64 v8, v[19:20], v[23:24] offset0:4 offset1:5
	v_mov_b32_e32 v19, v28
	v_mov_b32_e32 v20, v27
	;; [unrolled: 1-line block ×4, first 2 shown]
	v_fmac_f32_e32 v19, 0x3f3504f3, v32
	v_fmac_f32_e32 v20, 0x3f3504f3, v33
	;; [unrolled: 1-line block ×8, first 2 shown]
	v_fma_f32 v23, v28, 2.0, -v19
	v_fma_f32 v24, v27, 2.0, -v20
	;; [unrolled: 1-line block ×4, first 2 shown]
	ds_write2_b64 v8, v[23:24], v[27:28] offset0:6 offset1:7
	ds_write2_b64 v8, v[6:7], v[13:14] offset0:8 offset1:9
	;; [unrolled: 1-line block ×5, first 2 shown]
	v_and_b32_e32 v6, 15, v0
	v_mul_u32_u24_e32 v6, 15, v6
	v_lshlrev_b32_e32 v8, 3, v6
	s_waitcnt lgkmcnt(0)
	s_barrier
	global_load_dwordx2 v[6:7], v8, s[8:9] offset:112
	global_load_dwordx4 v[11:14], v8, s[8:9] offset:96
	global_load_dwordx4 v[15:18], v8, s[8:9] offset:80
	global_load_dwordx4 v[19:22], v8, s[8:9] offset:64
	global_load_dwordx4 v[23:26], v8, s[8:9] offset:48
	global_load_dwordx4 v[27:30], v8, s[8:9] offset:32
	ds_read2st64_b64 v[31:34], v10 offset0:56 offset1:60
	v_lshl_or_b32 v0, v3, 4, v0
	v_and_b32_e32 v0, 0xf0f, v0
	v_lshl_add_u32 v0, v0, 3, 0
	s_waitcnt vmcnt(5) lgkmcnt(0)
	v_mul_f32_e32 v35, v34, v7
	v_mul_f32_e32 v7, v33, v7
	v_fma_f32 v37, v33, v6, -v35
	v_fmac_f32_e32 v7, v34, v6
	ds_read2st64_b64 v[33:36], v10 offset0:48 offset1:52
	s_waitcnt vmcnt(4)
	v_mul_f32_e32 v6, v32, v14
	v_fma_f32 v6, v31, v13, -v6
	v_mul_f32_e32 v31, v31, v14
	v_fmac_f32_e32 v31, v32, v13
	s_waitcnt lgkmcnt(0)
	v_mul_f32_e32 v13, v36, v12
	v_fma_f32 v32, v35, v11, -v13
	v_mul_f32_e32 v35, v35, v12
	v_fmac_f32_e32 v35, v36, v11
	ds_read2st64_b64 v[11:14], v10 offset0:40 offset1:44
	s_waitcnt vmcnt(3)
	v_mul_f32_e32 v36, v34, v18
	v_fma_f32 v36, v33, v17, -v36
	v_mul_f32_e32 v33, v33, v18
	v_fmac_f32_e32 v33, v34, v17
	s_waitcnt lgkmcnt(0)
	v_mul_f32_e32 v17, v14, v16
	v_mul_f32_e32 v38, v13, v16
	v_fma_f32 v34, v13, v15, -v17
	v_fmac_f32_e32 v38, v14, v15
	ds_read2st64_b64 v[13:16], v10 offset0:32 offset1:36
	s_waitcnt vmcnt(2)
	v_mul_f32_e32 v17, v12, v22
	v_fma_f32 v39, v11, v21, -v17
	v_mul_f32_e32 v40, v11, v22
	v_fmac_f32_e32 v40, v12, v21
	s_waitcnt lgkmcnt(0)
	v_mul_f32_e32 v11, v16, v20
	v_mul_f32_e32 v42, v15, v20
	v_fma_f32 v41, v15, v19, -v11
	v_fmac_f32_e32 v42, v16, v19
	ds_read2st64_b64 v[15:18], v10 offset0:24 offset1:28
	s_waitcnt vmcnt(1)
	v_mul_f32_e32 v11, v14, v26
	v_mul_f32_e32 v26, v13, v26
	v_fma_f32 v43, v13, v25, -v11
	v_fmac_f32_e32 v26, v14, v25
	global_load_dwordx4 v[11:14], v8, s[8:9] offset:16
	s_waitcnt lgkmcnt(0)
	v_mul_f32_e32 v19, v18, v24
	v_mul_f32_e32 v24, v17, v24
	v_fma_f32 v25, v17, v23, -v19
	v_fmac_f32_e32 v24, v18, v23
	ds_read2st64_b64 v[17:20], v10 offset0:16 offset1:20
	s_waitcnt vmcnt(1)
	v_mul_f32_e32 v21, v16, v30
	v_fma_f32 v23, v15, v29, -v21
	v_mul_f32_e32 v30, v15, v30
	v_fmac_f32_e32 v30, v16, v29
	s_waitcnt lgkmcnt(0)
	v_mul_f32_e32 v15, v20, v28
	v_mul_f32_e32 v28, v19, v28
	v_fma_f32 v29, v19, v27, -v15
	v_fmac_f32_e32 v28, v20, v27
	global_load_dwordx4 v[19:22], v8, s[8:9]
	v_sub_f32_e32 v6, v23, v6
	v_sub_f32_e32 v31, v30, v31
	v_fma_f32 v30, v30, 2.0, -v31
	v_fma_f32 v23, v23, 2.0, -v6
	v_sub_f32_e32 v35, v28, v35
	v_sub_f32_e32 v32, v29, v32
	v_fma_f32 v28, v28, 2.0, -v35
	v_sub_f32_e32 v7, v24, v7
	v_fma_f32 v29, v29, 2.0, -v32
	;; [unrolled: 2-line block ×3, first 2 shown]
	v_fma_f32 v24, v24, 2.0, -v7
	s_waitcnt vmcnt(1)
	v_mul_f32_e32 v8, v14, v18
	v_fma_f32 v8, v13, v17, -v8
	v_mul_f32_e32 v17, v14, v17
	v_fmac_f32_e32 v17, v13, v18
	ds_read2st64_b64 v[13:16], v10 offset0:8 offset1:12
	s_waitcnt lgkmcnt(0)
	v_mul_f32_e32 v18, v12, v16
	v_fma_f32 v18, v11, v15, -v18
	v_mul_f32_e32 v15, v12, v15
	v_fmac_f32_e32 v15, v11, v16
	v_sub_f32_e32 v34, v18, v34
	s_waitcnt vmcnt(0)
	v_mul_f32_e32 v11, v22, v14
	v_mul_f32_e32 v22, v22, v13
	v_fma_f32 v16, v21, v13, -v11
	v_fmac_f32_e32 v22, v21, v14
	ds_read2st64_b64 v[11:14], v10 offset1:4
	v_sub_f32_e32 v27, v16, v39
	v_sub_f32_e32 v31, v27, v31
	v_fma_f32 v16, v16, 2.0, -v27
	v_sub_f32_e32 v38, v15, v38
	s_waitcnt lgkmcnt(0)
	v_mul_f32_e32 v21, v20, v14
	v_fma_f32 v21, v19, v13, -v21
	v_mul_f32_e32 v13, v20, v13
	v_fmac_f32_e32 v13, v19, v14
	v_sub_f32_e32 v19, v12, v26
	v_sub_f32_e32 v20, v8, v36
	;; [unrolled: 1-line block ×4, first 2 shown]
	v_fma_f32 v8, v8, 2.0, -v20
	v_sub_f32_e32 v33, v22, v40
	v_add_f32_e32 v20, v19, v20
	v_fma_f32 v12, v12, 2.0, -v19
	v_fma_f32 v17, v17, 2.0, -v26
	v_sub_f32_e32 v26, v14, v26
	v_fma_f32 v19, v19, 2.0, -v20
	v_add_f32_e32 v36, v33, v6
	v_fma_f32 v11, v11, 2.0, -v14
	v_fma_f32 v14, v14, 2.0, -v26
	v_fma_f32 v6, v27, 2.0, -v31
	v_fma_f32 v27, v33, 2.0, -v36
	v_mov_b32_e32 v39, v19
	v_fma_f32 v22, v22, 2.0, -v33
	v_mov_b32_e32 v33, v14
	v_fmac_f32_e32 v39, 0xbf3504f3, v27
	v_fmac_f32_e32 v33, 0xbf3504f3, v6
	;; [unrolled: 1-line block ×3, first 2 shown]
	v_sub_f32_e32 v6, v21, v41
	v_fmac_f32_e32 v33, 0xbf3504f3, v27
	v_sub_f32_e32 v27, v13, v42
	v_sub_f32_e32 v35, v6, v35
	v_add_f32_e32 v32, v27, v32
	v_fma_f32 v40, v6, 2.0, -v35
	v_sub_f32_e32 v41, v34, v7
	v_fma_f32 v21, v21, 2.0, -v6
	v_fma_f32 v13, v13, 2.0, -v27
	;; [unrolled: 1-line block ×4, first 2 shown]
	v_add_f32_e32 v37, v38, v37
	v_fma_f32 v6, v34, 2.0, -v41
	v_mov_b32_e32 v34, v40
	v_fma_f32 v15, v15, 2.0, -v38
	v_fma_f32 v7, v38, 2.0, -v37
	v_fmac_f32_e32 v34, 0xbf3504f3, v6
	v_mov_b32_e32 v38, v27
	v_sub_f32_e32 v17, v12, v17
	v_sub_f32_e32 v30, v22, v30
	v_fmac_f32_e32 v38, 0xbf3504f3, v7
	v_fmac_f32_e32 v34, 0xbf3504f3, v7
	v_sub_f32_e32 v8, v11, v8
	v_fma_f32 v7, v12, 2.0, -v17
	v_sub_f32_e32 v23, v16, v23
	v_fma_f32 v12, v22, 2.0, -v30
	v_sub_f32_e32 v22, v21, v29
	v_fmac_f32_e32 v38, 0x3f3504f3, v6
	v_fma_f32 v6, v11, 2.0, -v8
	v_fma_f32 v11, v16, 2.0, -v23
	;; [unrolled: 1-line block ×3, first 2 shown]
	v_sub_f32_e32 v21, v18, v25
	v_sub_f32_e32 v28, v13, v28
	;; [unrolled: 1-line block ×3, first 2 shown]
	v_fma_f32 v18, v18, 2.0, -v21
	v_fma_f32 v13, v13, 2.0, -v28
	;; [unrolled: 1-line block ×3, first 2 shown]
	v_sub_f32_e32 v25, v6, v11
	v_sub_f32_e32 v42, v16, v18
	;; [unrolled: 1-line block ×3, first 2 shown]
	v_fma_f32 v11, v6, 2.0, -v25
	v_sub_f32_e32 v43, v13, v15
	v_fma_f32 v6, v16, 2.0, -v42
	v_fma_f32 v15, v14, 2.0, -v33
	;; [unrolled: 1-line block ×5, first 2 shown]
	v_mov_b32_e32 v27, v26
	v_mov_b32_e32 v40, v20
	v_fma_f32 v12, v7, 2.0, -v29
	v_fma_f32 v7, v13, 2.0, -v43
	v_mov_b32_e32 v13, v15
	v_mov_b32_e32 v14, v16
	v_fmac_f32_e32 v27, 0x3f3504f3, v31
	v_fmac_f32_e32 v40, 0x3f3504f3, v36
	;; [unrolled: 1-line block ×6, first 2 shown]
	v_mov_b32_e32 v31, v35
	v_mov_b32_e32 v36, v32
	v_sub_f32_e32 v6, v11, v6
	v_sub_f32_e32 v7, v12, v7
	v_fmac_f32_e32 v13, 0xbec3ef15, v19
	v_fmac_f32_e32 v14, 0x3ec3ef15, v18
	;; [unrolled: 1-line block ×4, first 2 shown]
	v_sub_f32_e32 v30, v8, v30
	v_fma_f32 v11, v11, 2.0, -v6
	v_fma_f32 v12, v12, 2.0, -v7
	;; [unrolled: 1-line block ×4, first 2 shown]
	v_fmac_f32_e32 v31, 0xbf3504f3, v37
	v_fmac_f32_e32 v36, 0x3f3504f3, v41
	v_add_f32_e32 v37, v17, v23
	v_fma_f32 v8, v8, 2.0, -v30
	v_sub_f32_e32 v41, v22, v24
	s_barrier
	ds_write2_b64 v0, v[11:12], v[15:16] offset1:16
	v_fma_f32 v16, v17, 2.0, -v37
	v_add_f32_e32 v44, v28, v21
	v_fma_f32 v15, v22, 2.0, -v41
	v_mov_b32_e32 v11, v8
	v_fma_f32 v17, v28, 2.0, -v44
	v_fmac_f32_e32 v11, 0xbf3504f3, v15
	v_mov_b32_e32 v12, v16
	v_fmac_f32_e32 v12, 0xbf3504f3, v17
	v_fmac_f32_e32 v11, 0xbf3504f3, v17
	;; [unrolled: 1-line block ×3, first 2 shown]
	v_fma_f32 v15, v8, 2.0, -v11
	v_fma_f32 v8, v26, 2.0, -v27
	;; [unrolled: 1-line block ×5, first 2 shown]
	v_mov_b32_e32 v17, v8
	v_mov_b32_e32 v18, v20
	v_fmac_f32_e32 v17, 0xbec3ef15, v19
	v_fmac_f32_e32 v18, 0xbec3ef15, v21
	;; [unrolled: 1-line block ×4, first 2 shown]
	v_mov_b32_e32 v21, v33
	v_mov_b32_e32 v22, v39
	v_fma_f32 v16, v16, 2.0, -v12
	v_fma_f32 v19, v8, 2.0, -v17
	;; [unrolled: 1-line block ×3, first 2 shown]
	v_fmac_f32_e32 v21, 0x3ec3ef15, v34
	v_fmac_f32_e32 v22, 0x3ec3ef15, v38
	ds_write2_b64 v0, v[15:16], v[19:20] offset0:32 offset1:48
	v_sub_f32_e32 v15, v25, v43
	v_add_f32_e32 v16, v29, v42
	v_fmac_f32_e32 v21, 0xbf6c835e, v38
	v_fmac_f32_e32 v22, 0x3f6c835e, v34
	v_fma_f32 v19, v25, 2.0, -v15
	v_fma_f32 v20, v29, 2.0, -v16
	;; [unrolled: 1-line block ×4, first 2 shown]
	ds_write2_b64 v0, v[19:20], v[23:24] offset0:64 offset1:80
	v_mov_b32_e32 v19, v30
	v_mov_b32_e32 v20, v37
	;; [unrolled: 1-line block ×4, first 2 shown]
	v_fmac_f32_e32 v19, 0x3f3504f3, v41
	v_fmac_f32_e32 v20, 0x3f3504f3, v44
	;; [unrolled: 1-line block ×8, first 2 shown]
	v_fma_f32 v23, v30, 2.0, -v19
	v_fma_f32 v24, v37, 2.0, -v20
	;; [unrolled: 1-line block ×4, first 2 shown]
	ds_write2_b64 v0, v[23:24], v[27:28] offset0:96 offset1:112
	ds_write2_b64 v0, v[6:7], v[13:14] offset0:128 offset1:144
	;; [unrolled: 1-line block ×5, first 2 shown]
	v_mul_u32_u24_e32 v0, 15, v3
	v_lshlrev_b32_e32 v0, 3, v0
	s_waitcnt lgkmcnt(0)
	s_barrier
	global_load_dwordx4 v[11:14], v0, s[8:9] offset:1952
	global_load_dwordx4 v[15:18], v0, s[8:9] offset:1968
	;; [unrolled: 1-line block ×5, first 2 shown]
	global_load_dwordx2 v[6:7], v0, s[8:9] offset:2032
	global_load_dwordx4 v[31:34], v0, s[8:9] offset:1936
	global_load_dwordx4 v[35:38], v0, s[8:9] offset:1920
	v_add_u32_e32 v8, 0x2800, v10
	ds_read2_b32 v[43:44], v8 offset1:1
	ds_read2st64_b64 v[39:42], v10 offset0:24 offset1:28
	s_waitcnt vmcnt(7) lgkmcnt(1)
	v_mul_f32_e32 v0, v44, v12
	v_mul_f32_e32 v8, v12, v43
	v_fma_f32 v0, v11, v43, -v0
	v_fmac_f32_e32 v8, v44, v11
	s_waitcnt lgkmcnt(0)
	v_mul_f32_e32 v11, v40, v14
	v_fma_f32 v43, v39, v13, -v11
	v_mul_f32_e32 v39, v39, v14
	s_waitcnt vmcnt(6)
	v_mul_f32_e32 v11, v42, v16
	v_fmac_f32_e32 v39, v40, v13
	v_fma_f32 v40, v41, v15, -v11
	ds_read2st64_b64 v[11:14], v10 offset0:32 offset1:36
	v_mul_f32_e32 v41, v41, v16
	v_fmac_f32_e32 v41, v42, v15
	s_waitcnt lgkmcnt(0)
	v_mul_f32_e32 v15, v12, v18
	v_fma_f32 v42, v11, v17, -v15
	v_mul_f32_e32 v18, v11, v18
	s_waitcnt vmcnt(5)
	v_mul_f32_e32 v11, v14, v20
	v_mul_f32_e32 v20, v13, v20
	v_fmac_f32_e32 v18, v12, v17
	v_fma_f32 v17, v13, v19, -v11
	v_fmac_f32_e32 v20, v14, v19
	ds_read2st64_b64 v[11:14], v10 offset0:40 offset1:44
	s_waitcnt lgkmcnt(0)
	v_mul_f32_e32 v15, v12, v22
	v_fma_f32 v19, v11, v21, -v15
	v_mul_f32_e32 v22, v11, v22
	s_waitcnt vmcnt(4)
	v_mul_f32_e32 v11, v14, v24
	v_mul_f32_e32 v24, v13, v24
	v_fmac_f32_e32 v22, v12, v21
	v_fma_f32 v21, v13, v23, -v11
	v_fmac_f32_e32 v24, v14, v23
	ds_read2st64_b64 v[11:14], v10 offset0:48 offset1:52
	;; [unrolled: 11-line block ×3, first 2 shown]
	s_waitcnt lgkmcnt(0)
	v_mul_f32_e32 v15, v12, v30
	v_fma_f32 v27, v11, v29, -v15
	ds_read_b64 v[15:16], v10 offset:8192
	v_mul_f32_e32 v30, v11, v30
	s_waitcnt vmcnt(2)
	v_mul_f32_e32 v11, v14, v7
	v_mul_f32_e32 v7, v13, v7
	v_fmac_f32_e32 v30, v12, v29
	v_fma_f32 v29, v13, v6, -v11
	v_fmac_f32_e32 v7, v14, v6
	ds_read2st64_b64 v[11:14], v10 offset0:8 offset1:12
	s_waitcnt vmcnt(1) lgkmcnt(1)
	v_mul_f32_e32 v6, v34, v16
	v_fma_f32 v6, v33, v15, -v6
	v_mul_f32_e32 v15, v34, v15
	v_fmac_f32_e32 v15, v33, v16
	s_waitcnt lgkmcnt(0)
	v_mul_f32_e32 v16, v32, v14
	v_fma_f32 v16, v31, v13, -v16
	v_mul_f32_e32 v32, v32, v13
	s_waitcnt vmcnt(0)
	v_mul_f32_e32 v13, v38, v12
	v_mul_f32_e32 v33, v38, v11
	v_fmac_f32_e32 v32, v31, v14
	v_fma_f32 v31, v37, v11, -v13
	v_fmac_f32_e32 v33, v37, v12
	ds_read2st64_b64 v[11:14], v10 offset1:4
	v_sub_f32_e32 v26, v15, v26
	v_sub_f32_e32 v23, v6, v23
	v_fma_f32 v15, v15, 2.0, -v26
	v_sub_f32_e32 v19, v31, v19
	s_waitcnt lgkmcnt(0)
	v_mul_f32_e32 v34, v36, v14
	v_fma_f32 v34, v35, v13, -v34
	v_mul_f32_e32 v13, v36, v13
	v_fmac_f32_e32 v13, v35, v14
	v_sub_f32_e32 v14, v11, v42
	v_sub_f32_e32 v18, v12, v18
	v_sub_f32_e32 v30, v39, v30
	v_sub_f32_e32 v26, v14, v26
	v_fma_f32 v11, v11, 2.0, -v14
	v_fma_f32 v6, v6, 2.0, -v23
	v_sub_f32_e32 v22, v33, v22
	v_sub_f32_e32 v27, v43, v27
	v_fma_f32 v36, v39, 2.0, -v30
	v_add_f32_e32 v23, v18, v23
	v_fma_f32 v14, v14, 2.0, -v26
	v_sub_f32_e32 v30, v19, v30
	v_fma_f32 v12, v12, 2.0, -v18
	v_fma_f32 v31, v31, 2.0, -v19
	;; [unrolled: 1-line block ×4, first 2 shown]
	v_add_f32_e32 v27, v22, v27
	v_fma_f32 v19, v19, 2.0, -v30
	v_mov_b32_e32 v37, v14
	v_fma_f32 v33, v33, 2.0, -v22
	v_fma_f32 v22, v22, 2.0, -v27
	v_fmac_f32_e32 v37, 0xbf3504f3, v19
	v_mov_b32_e32 v38, v18
	v_fmac_f32_e32 v38, 0xbf3504f3, v22
	v_fmac_f32_e32 v37, 0xbf3504f3, v22
	v_sub_f32_e32 v17, v34, v17
	v_sub_f32_e32 v22, v0, v25
	;; [unrolled: 1-line block ×3, first 2 shown]
	v_fmac_f32_e32 v38, 0x3f3504f3, v19
	v_sub_f32_e32 v19, v13, v20
	v_fma_f32 v8, v8, 2.0, -v25
	v_sub_f32_e32 v21, v16, v21
	v_sub_f32_e32 v24, v32, v24
	;; [unrolled: 1-line block ×5, first 2 shown]
	v_fma_f32 v20, v34, 2.0, -v17
	v_fma_f32 v0, v0, 2.0, -v22
	;; [unrolled: 1-line block ×4, first 2 shown]
	v_add_f32_e32 v22, v19, v22
	v_fma_f32 v17, v17, 2.0, -v25
	v_sub_f32_e32 v39, v21, v7
	v_add_f32_e32 v29, v24, v29
	v_fma_f32 v13, v13, 2.0, -v19
	v_fma_f32 v16, v16, 2.0, -v21
	;; [unrolled: 1-line block ×6, first 2 shown]
	v_mov_b32_e32 v24, v17
	v_fmac_f32_e32 v24, 0xbf3504f3, v7
	v_mov_b32_e32 v40, v19
	v_sub_f32_e32 v0, v20, v0
	v_fmac_f32_e32 v40, 0xbf3504f3, v21
	v_fmac_f32_e32 v24, 0xbf3504f3, v21
	v_sub_f32_e32 v21, v11, v6
	v_sub_f32_e32 v41, v12, v15
	;; [unrolled: 1-line block ×3, first 2 shown]
	v_fma_f32 v15, v20, 2.0, -v0
	v_sub_f32_e32 v20, v16, v32
	v_fma_f32 v6, v11, 2.0, -v21
	v_sub_f32_e32 v36, v33, v36
	;; [unrolled: 2-line block ×3, first 2 shown]
	v_sub_f32_e32 v31, v28, v34
	v_fma_f32 v16, v16, 2.0, -v20
	v_fmac_f32_e32 v40, 0x3f3504f3, v7
	v_fma_f32 v7, v12, 2.0, -v41
	v_fma_f32 v12, v33, 2.0, -v36
	;; [unrolled: 1-line block ×4, first 2 shown]
	v_sub_f32_e32 v32, v6, v11
	v_sub_f32_e32 v34, v15, v16
	;; [unrolled: 1-line block ×3, first 2 shown]
	v_fma_f32 v11, v6, 2.0, -v32
	v_sub_f32_e32 v28, v13, v28
	v_fma_f32 v6, v15, 2.0, -v34
	v_fma_f32 v15, v14, 2.0, -v37
	;; [unrolled: 1-line block ×7, first 2 shown]
	v_mov_b32_e32 v13, v15
	v_mov_b32_e32 v14, v16
	v_fmac_f32_e32 v13, 0xbf6c835e, v17
	v_fmac_f32_e32 v14, 0xbf6c835e, v18
	v_sub_f32_e32 v6, v11, v6
	v_sub_f32_e32 v7, v12, v7
	v_fmac_f32_e32 v13, 0xbec3ef15, v18
	v_fmac_f32_e32 v14, 0x3ec3ef15, v17
	v_fma_f32 v11, v11, 2.0, -v6
	v_fma_f32 v12, v12, 2.0, -v7
	;; [unrolled: 1-line block ×4, first 2 shown]
	v_sub_f32_e32 v36, v21, v36
	v_add_f32_e32 v35, v41, v35
	s_barrier
	ds_write2st64_b64 v10, v[11:12], v[15:16] offset1:4
	v_fma_f32 v15, v21, 2.0, -v36
	v_fma_f32 v16, v41, 2.0, -v35
	v_sub_f32_e32 v31, v0, v31
	v_add_f32_e32 v41, v8, v20
	v_fma_f32 v0, v0, 2.0, -v31
	v_fma_f32 v8, v8, 2.0, -v41
	v_mov_b32_e32 v11, v15
	v_mov_b32_e32 v12, v16
	v_fmac_f32_e32 v11, 0xbf3504f3, v0
	v_fmac_f32_e32 v12, 0xbf3504f3, v8
	;; [unrolled: 1-line block ×4, first 2 shown]
	v_mov_b32_e32 v0, v26
	v_mov_b32_e32 v8, v23
	v_fmac_f32_e32 v0, 0x3f3504f3, v30
	v_fmac_f32_e32 v8, 0x3f3504f3, v27
	;; [unrolled: 1-line block ×4, first 2 shown]
	v_mov_b32_e32 v27, v25
	v_mov_b32_e32 v30, v22
	v_fmac_f32_e32 v27, 0x3f3504f3, v39
	v_fmac_f32_e32 v30, 0x3f3504f3, v29
	v_fma_f32 v15, v15, 2.0, -v11
	v_fma_f32 v16, v16, 2.0, -v12
	v_fmac_f32_e32 v27, 0xbf3504f3, v29
	v_fmac_f32_e32 v30, 0x3f3504f3, v39
	v_fma_f32 v17, v26, 2.0, -v0
	v_fma_f32 v18, v23, 2.0, -v8
	ds_write_b64 v10, v[15:16] offset:4096
	v_fma_f32 v19, v25, 2.0, -v27
	v_fma_f32 v20, v22, 2.0, -v30
	v_mov_b32_e32 v15, v17
	v_mov_b32_e32 v16, v18
	v_fmac_f32_e32 v15, 0xbec3ef15, v19
	v_fmac_f32_e32 v16, 0xbec3ef15, v20
	;; [unrolled: 1-line block ×4, first 2 shown]
	v_mov_b32_e32 v21, v37
	v_mov_b32_e32 v22, v38
	v_fma_f32 v17, v17, 2.0, -v15
	v_fma_f32 v18, v18, 2.0, -v16
	v_fmac_f32_e32 v21, 0x3ec3ef15, v24
	v_fmac_f32_e32 v22, 0x3ec3ef15, v40
	ds_write_b64 v4, v[17:18]
	v_sub_f32_e32 v17, v32, v28
	v_add_f32_e32 v18, v33, v34
	v_fmac_f32_e32 v21, 0xbf6c835e, v40
	v_fmac_f32_e32 v22, 0x3f6c835e, v24
	v_fma_f32 v19, v32, 2.0, -v17
	v_fma_f32 v20, v33, 2.0, -v18
	;; [unrolled: 1-line block ×4, first 2 shown]
	ds_write2st64_b64 v10, v[19:20], v[23:24] offset0:16 offset1:20
	v_mov_b32_e32 v19, v36
	v_mov_b32_e32 v20, v35
	v_fmac_f32_e32 v19, 0x3f3504f3, v31
	v_fmac_f32_e32 v20, 0x3f3504f3, v41
	;; [unrolled: 1-line block ×4, first 2 shown]
	v_fma_f32 v23, v36, 2.0, -v19
	v_fma_f32 v24, v35, 2.0, -v20
	ds_write_b64 v10, v[23:24] offset:12288
	v_mov_b32_e32 v23, v0
	v_mov_b32_e32 v24, v8
	v_fmac_f32_e32 v23, 0x3f6c835e, v27
	v_fmac_f32_e32 v24, 0x3f6c835e, v30
	v_fmac_f32_e32 v23, 0xbec3ef15, v30
	v_fmac_f32_e32 v24, 0x3ec3ef15, v27
	v_fma_f32 v25, v0, 2.0, -v23
	v_fma_f32 v26, v8, 2.0, -v24
	v_add_u32_e32 v0, 0, v9
	ds_write_b64 v5, v[25:26]
	ds_write2st64_b64 v10, v[6:7], v[13:14] offset0:32 offset1:36
	ds_write_b64 v10, v[11:12] offset:20480
	ds_write_b64 v0, v[15:16] offset:22528
	ds_write2st64_b64 v10, v[17:18], v[21:22] offset0:48 offset1:52
	ds_write_b64 v10, v[19:20] offset:28672
	ds_write_b64 v0, v[23:24] offset:30720
	s_waitcnt lgkmcnt(0)
	s_barrier
	s_and_saveexec_b64 s[0:1], vcc
	s_cbranch_execz .LBB0_19
; %bb.18:
	v_lshl_add_u32 v9, v3, 3, 0
	v_mov_b32_e32 v4, 0
	ds_read2st64_b64 v[5:8], v9 offset1:4
	v_mov_b32_e32 v0, s3
	v_add_co_u32_e32 v10, vcc, s2, v1
	v_addc_co_u32_e32 v2, vcc, v0, v2, vcc
	v_lshlrev_b64 v[0:1], 3, v[3:4]
	v_add_co_u32_e32 v0, vcc, v10, v0
	v_addc_co_u32_e32 v1, vcc, v2, v1, vcc
	s_waitcnt lgkmcnt(0)
	global_store_dwordx2 v[0:1], v[5:6], off
	v_add_u32_e32 v0, 0x100, v3
	v_mov_b32_e32 v1, v4
	v_lshlrev_b64 v[0:1], 3, v[0:1]
	v_add_co_u32_e32 v0, vcc, v10, v0
	v_addc_co_u32_e32 v1, vcc, v2, v1, vcc
	global_store_dwordx2 v[0:1], v[7:8], off
	v_add_u32_e32 v0, 0x200, v3
	v_mov_b32_e32 v1, v4
	ds_read2st64_b64 v[5:8], v9 offset0:8 offset1:12
	v_lshlrev_b64 v[0:1], 3, v[0:1]
	v_add_co_u32_e32 v0, vcc, v10, v0
	v_addc_co_u32_e32 v1, vcc, v2, v1, vcc
	s_waitcnt lgkmcnt(0)
	global_store_dwordx2 v[0:1], v[5:6], off
	v_add_u32_e32 v0, 0x300, v3
	v_mov_b32_e32 v1, v4
	v_lshlrev_b64 v[0:1], 3, v[0:1]
	v_add_co_u32_e32 v0, vcc, v10, v0
	v_addc_co_u32_e32 v1, vcc, v2, v1, vcc
	global_store_dwordx2 v[0:1], v[7:8], off
	v_add_u32_e32 v0, 0x400, v3
	v_mov_b32_e32 v1, v4
	ds_read2st64_b64 v[5:8], v9 offset0:16 offset1:20
	;; [unrolled: 14-line block ×7, first 2 shown]
	v_lshlrev_b64 v[0:1], 3, v[0:1]
	v_add_u32_e32 v3, 0xf00, v3
	v_add_co_u32_e32 v0, vcc, v10, v0
	v_addc_co_u32_e32 v1, vcc, v2, v1, vcc
	s_waitcnt lgkmcnt(0)
	global_store_dwordx2 v[0:1], v[5:6], off
	v_lshlrev_b64 v[0:1], 3, v[3:4]
	v_add_co_u32_e32 v0, vcc, v10, v0
	v_addc_co_u32_e32 v1, vcc, v2, v1, vcc
	global_store_dwordx2 v[0:1], v[7:8], off
.LBB0_19:
	s_endpgm
	.section	.rodata,"a",@progbits
	.p2align	6, 0x0
	.amdhsa_kernel fft_rtc_fwd_len4096_factors_16_16_16_wgs_256_tpt_256_halfLds_sp_ip_CI_unitstride_sbrr_C2R_dirReg
		.amdhsa_group_segment_fixed_size 0
		.amdhsa_private_segment_fixed_size 0
		.amdhsa_kernarg_size 88
		.amdhsa_user_sgpr_count 6
		.amdhsa_user_sgpr_private_segment_buffer 1
		.amdhsa_user_sgpr_dispatch_ptr 0
		.amdhsa_user_sgpr_queue_ptr 0
		.amdhsa_user_sgpr_kernarg_segment_ptr 1
		.amdhsa_user_sgpr_dispatch_id 0
		.amdhsa_user_sgpr_flat_scratch_init 0
		.amdhsa_user_sgpr_private_segment_size 0
		.amdhsa_uses_dynamic_stack 0
		.amdhsa_system_sgpr_private_segment_wavefront_offset 0
		.amdhsa_system_sgpr_workgroup_id_x 1
		.amdhsa_system_sgpr_workgroup_id_y 0
		.amdhsa_system_sgpr_workgroup_id_z 0
		.amdhsa_system_sgpr_workgroup_info 0
		.amdhsa_system_vgpr_workitem_id 0
		.amdhsa_next_free_vgpr 48
		.amdhsa_next_free_sgpr 22
		.amdhsa_reserve_vcc 1
		.amdhsa_reserve_flat_scratch 0
		.amdhsa_float_round_mode_32 0
		.amdhsa_float_round_mode_16_64 0
		.amdhsa_float_denorm_mode_32 3
		.amdhsa_float_denorm_mode_16_64 3
		.amdhsa_dx10_clamp 1
		.amdhsa_ieee_mode 1
		.amdhsa_fp16_overflow 0
		.amdhsa_exception_fp_ieee_invalid_op 0
		.amdhsa_exception_fp_denorm_src 0
		.amdhsa_exception_fp_ieee_div_zero 0
		.amdhsa_exception_fp_ieee_overflow 0
		.amdhsa_exception_fp_ieee_underflow 0
		.amdhsa_exception_fp_ieee_inexact 0
		.amdhsa_exception_int_div_zero 0
	.end_amdhsa_kernel
	.text
.Lfunc_end0:
	.size	fft_rtc_fwd_len4096_factors_16_16_16_wgs_256_tpt_256_halfLds_sp_ip_CI_unitstride_sbrr_C2R_dirReg, .Lfunc_end0-fft_rtc_fwd_len4096_factors_16_16_16_wgs_256_tpt_256_halfLds_sp_ip_CI_unitstride_sbrr_C2R_dirReg
                                        ; -- End function
	.section	.AMDGPU.csdata,"",@progbits
; Kernel info:
; codeLenInByte = 8304
; NumSgprs: 26
; NumVgprs: 48
; ScratchSize: 0
; MemoryBound: 0
; FloatMode: 240
; IeeeMode: 1
; LDSByteSize: 0 bytes/workgroup (compile time only)
; SGPRBlocks: 3
; VGPRBlocks: 11
; NumSGPRsForWavesPerEU: 26
; NumVGPRsForWavesPerEU: 48
; Occupancy: 5
; WaveLimiterHint : 1
; COMPUTE_PGM_RSRC2:SCRATCH_EN: 0
; COMPUTE_PGM_RSRC2:USER_SGPR: 6
; COMPUTE_PGM_RSRC2:TRAP_HANDLER: 0
; COMPUTE_PGM_RSRC2:TGID_X_EN: 1
; COMPUTE_PGM_RSRC2:TGID_Y_EN: 0
; COMPUTE_PGM_RSRC2:TGID_Z_EN: 0
; COMPUTE_PGM_RSRC2:TIDIG_COMP_CNT: 0
	.type	__hip_cuid_b632c79868d824c3,@object ; @__hip_cuid_b632c79868d824c3
	.section	.bss,"aw",@nobits
	.globl	__hip_cuid_b632c79868d824c3
__hip_cuid_b632c79868d824c3:
	.byte	0                               ; 0x0
	.size	__hip_cuid_b632c79868d824c3, 1

	.ident	"AMD clang version 19.0.0git (https://github.com/RadeonOpenCompute/llvm-project roc-6.4.0 25133 c7fe45cf4b819c5991fe208aaa96edf142730f1d)"
	.section	".note.GNU-stack","",@progbits
	.addrsig
	.addrsig_sym __hip_cuid_b632c79868d824c3
	.amdgpu_metadata
---
amdhsa.kernels:
  - .args:
      - .actual_access:  read_only
        .address_space:  global
        .offset:         0
        .size:           8
        .value_kind:     global_buffer
      - .offset:         8
        .size:           8
        .value_kind:     by_value
      - .actual_access:  read_only
        .address_space:  global
        .offset:         16
        .size:           8
        .value_kind:     global_buffer
      - .actual_access:  read_only
        .address_space:  global
        .offset:         24
        .size:           8
        .value_kind:     global_buffer
      - .offset:         32
        .size:           8
        .value_kind:     by_value
      - .actual_access:  read_only
        .address_space:  global
        .offset:         40
        .size:           8
        .value_kind:     global_buffer
      - .actual_access:  read_only
        .address_space:  global
        .offset:         48
        .size:           8
        .value_kind:     global_buffer
      - .offset:         56
        .size:           4
        .value_kind:     by_value
      - .actual_access:  read_only
        .address_space:  global
        .offset:         64
        .size:           8
        .value_kind:     global_buffer
      - .actual_access:  read_only
        .address_space:  global
        .offset:         72
        .size:           8
        .value_kind:     global_buffer
      - .address_space:  global
        .offset:         80
        .size:           8
        .value_kind:     global_buffer
    .group_segment_fixed_size: 0
    .kernarg_segment_align: 8
    .kernarg_segment_size: 88
    .language:       OpenCL C
    .language_version:
      - 2
      - 0
    .max_flat_workgroup_size: 256
    .name:           fft_rtc_fwd_len4096_factors_16_16_16_wgs_256_tpt_256_halfLds_sp_ip_CI_unitstride_sbrr_C2R_dirReg
    .private_segment_fixed_size: 0
    .sgpr_count:     26
    .sgpr_spill_count: 0
    .symbol:         fft_rtc_fwd_len4096_factors_16_16_16_wgs_256_tpt_256_halfLds_sp_ip_CI_unitstride_sbrr_C2R_dirReg.kd
    .uniform_work_group_size: 1
    .uses_dynamic_stack: false
    .vgpr_count:     48
    .vgpr_spill_count: 0
    .wavefront_size: 64
amdhsa.target:   amdgcn-amd-amdhsa--gfx906
amdhsa.version:
  - 1
  - 2
...

	.end_amdgpu_metadata
